;; amdgpu-corpus repo=ROCm/rocFFT kind=compiled arch=gfx1030 opt=O3
	.text
	.amdgcn_target "amdgcn-amd-amdhsa--gfx1030"
	.amdhsa_code_object_version 6
	.protected	bluestein_single_back_len729_dim1_sp_op_CI_CI ; -- Begin function bluestein_single_back_len729_dim1_sp_op_CI_CI
	.globl	bluestein_single_back_len729_dim1_sp_op_CI_CI
	.p2align	8
	.type	bluestein_single_back_len729_dim1_sp_op_CI_CI,@function
bluestein_single_back_len729_dim1_sp_op_CI_CI: ; @bluestein_single_back_len729_dim1_sp_op_CI_CI
; %bb.0:
	s_load_dwordx4 s[8:11], s[4:5], 0x28
	v_mul_u32_u24_e32 v1, 0x10e, v0
	v_mov_b32_e32 v5, 0
	s_mov_b32 s0, exec_lo
	v_lshrrev_b32_e32 v1, 16, v1
	v_add_nc_u32_e32 v4, s6, v1
	s_waitcnt lgkmcnt(0)
	v_cmpx_gt_u64_e64 s[8:9], v[4:5]
	s_cbranch_execz .LBB0_2
; %bb.1:
	s_load_dwordx4 s[0:3], s[4:5], 0x18
	v_mul_lo_u16 v1, 0xf3, v1
	v_sub_nc_u16 v30, v0, v1
	v_and_b32_e32 v11, 0xffff, v30
	v_and_b32_e32 v31, 0xff, v30
	v_lshlrev_b32_e32 v12, 3, v11
	v_mul_lo_u16 v21, 0xab, v31
	s_waitcnt lgkmcnt(0)
	s_load_dwordx4 s[12:15], s[0:1], 0x0
	s_waitcnt lgkmcnt(0)
	v_mad_u64_u32 v[0:1], null, s14, v4, 0
	v_mad_u64_u32 v[2:3], null, s12, v11, 0
	s_mul_i32 s0, s13, 0x798
	v_mad_u64_u32 v[5:6], null, s15, v4, v[1:2]
	v_mad_u64_u32 v[6:7], null, s13, v11, v[3:4]
	v_mov_b32_e32 v1, v5
	v_mov_b32_e32 v3, v6
	v_lshlrev_b64 v[0:1], 3, v[0:1]
	v_lshlrev_b64 v[2:3], 3, v[2:3]
	v_add_co_u32 v0, vcc_lo, s10, v0
	v_add_co_ci_u32_e32 v1, vcc_lo, s11, v1, vcc_lo
	s_load_dwordx4 s[8:11], s[4:5], 0x0
	v_add_co_u32 v0, vcc_lo, v0, v2
	v_add_co_ci_u32_e32 v1, vcc_lo, v1, v3, vcc_lo
	v_mad_u64_u32 v[2:3], null, 0x798, s12, v[0:1]
	s_waitcnt lgkmcnt(0)
	global_load_dwordx2 v[5:6], v12, s[8:9]
	global_load_dwordx2 v[0:1], v[0:1], off
	v_add_nc_u32_e32 v3, s0, v3
	v_add_co_u32 v13, s1, s8, v12
	v_add_co_ci_u32_e64 v14, null, s9, 0, s1
	v_mad_u64_u32 v[15:16], null, 0x798, s12, v[2:3]
	v_add_co_u32 v9, vcc_lo, 0x800, v13
	v_add_co_ci_u32_e32 v10, vcc_lo, 0, v14, vcc_lo
	v_add_nc_u32_e32 v16, s0, v16
	global_load_dwordx2 v[2:3], v[2:3], off
	s_clause 0x1
	global_load_dwordx2 v[7:8], v12, s[8:9] offset:1944
	global_load_dwordx2 v[9:10], v[9:10], off offset:1840
	global_load_dwordx2 v[15:16], v[15:16], off
	s_load_dwordx4 s[0:3], s[2:3], 0x0
	s_waitcnt vmcnt(4)
	v_mul_f32_e32 v17, v1, v6
	v_mul_f32_e32 v18, v0, v6
	v_fmac_f32_e32 v17, v0, v5
	v_fma_f32 v18, v1, v5, -v18
	s_waitcnt vmcnt(2)
	v_mul_f32_e32 v0, v3, v8
	v_mul_f32_e32 v20, v2, v8
	s_waitcnt vmcnt(0)
	v_mul_f32_e32 v19, v16, v10
	v_mul_f32_e32 v22, v15, v10
	v_fmac_f32_e32 v0, v2, v7
	v_fma_f32 v1, v3, v7, -v20
	v_fmac_f32_e32 v19, v15, v9
	v_fma_f32 v20, v16, v9, -v22
	ds_write2_b64 v12, v[17:18], v[0:1] offset1:243
	ds_write_b64 v12, v[19:20] offset:3888
	s_waitcnt lgkmcnt(0)
	s_barrier
	buffer_gl0_inv
	ds_read2_b64 v[0:3], v12 offset1:243
	ds_read_b64 v[16:17], v12 offset:3888
	v_lshrrev_b16 v22, 9, v21
	v_mov_b32_e32 v18, 3
	v_mul_lo_u16 v19, v30, 3
	s_waitcnt lgkmcnt(0)
	s_barrier
	v_mul_lo_u16 v15, v22, 3
	buffer_gl0_inv
	v_sub_nc_u16 v15, v30, v15
	v_and_b32_e32 v23, 0xff, v15
	v_lshlrev_b32_sdwa v15, v18, v19 dst_sel:DWORD dst_unused:UNUSED_PAD src0_sel:DWORD src1_sel:WORD_0
	v_add_f32_e32 v20, v0, v2
	v_add_f32_e32 v19, v2, v16
	;; [unrolled: 1-line block ×3, first 2 shown]
	v_sub_f32_e32 v24, v3, v17
	v_add_f32_e32 v3, v1, v3
	v_lshlrev_b32_e32 v18, 4, v23
	v_fma_f32 v0, -0.5, v19, v0
	v_sub_f32_e32 v19, v2, v16
	v_fma_f32 v1, -0.5, v21, v1
	v_add_f32_e32 v2, v20, v16
	v_add_f32_e32 v3, v3, v17
	v_fmamk_f32 v16, v24, 0x3f5db3d7, v0
	v_fmac_f32_e32 v0, 0xbf5db3d7, v24
	v_fmamk_f32 v17, v19, 0xbf5db3d7, v1
	v_fmac_f32_e32 v1, 0x3f5db3d7, v19
	ds_write2_b64 v15, v[2:3], v[16:17] offset1:1
	ds_write_b64 v15, v[0:1] offset:16
	s_waitcnt lgkmcnt(0)
	s_barrier
	buffer_gl0_inv
	global_load_dwordx4 v[0:3], v18, s[10:11]
	ds_read2_b64 v[16:19], v12 offset1:243
	ds_read_b64 v[20:21], v12 offset:3888
	v_mul_lo_u16 v24, v31, 57
	s_waitcnt vmcnt(0) lgkmcnt(0)
	s_barrier
	buffer_gl0_inv
	v_lshrrev_b16 v26, 9, v24
	v_mov_b32_e32 v24, 9
	v_mul_lo_u16 v25, v26, 9
	v_mul_u32_u24_sdwa v22, v22, v24 dst_sel:DWORD dst_unused:UNUSED_PAD src0_sel:WORD_0 src1_sel:DWORD
	v_sub_nc_u16 v24, v30, v25
	v_add_lshl_u32 v42, v22, v23, 3
	v_and_b32_e32 v32, 0xff, v24
	v_lshlrev_b32_e32 v22, 4, v32
	v_mul_f32_e32 v25, v19, v1
	v_mul_f32_e32 v27, v21, v3
	v_mul_f32_e32 v28, v18, v1
	v_mul_f32_e32 v29, v20, v3
	v_fma_f32 v18, v18, v0, -v25
	v_fma_f32 v20, v20, v2, -v27
	v_fmac_f32_e32 v28, v19, v0
	v_fmac_f32_e32 v29, v21, v2
	v_add_f32_e32 v21, v16, v18
	v_add_f32_e32 v19, v18, v20
	;; [unrolled: 1-line block ×4, first 2 shown]
	v_sub_f32_e32 v24, v28, v29
	v_sub_f32_e32 v27, v18, v20
	v_fma_f32 v16, -0.5, v19, v16
	v_add_f32_e32 v18, v21, v20
	v_fma_f32 v17, -0.5, v23, v17
	v_add_f32_e32 v19, v25, v29
	v_fmamk_f32 v20, v24, 0x3f5db3d7, v16
	v_fmac_f32_e32 v16, 0xbf5db3d7, v24
	v_fmamk_f32 v21, v27, 0xbf5db3d7, v17
	v_fmac_f32_e32 v17, 0x3f5db3d7, v27
	ds_write2_b64 v42, v[18:19], v[20:21] offset1:3
	ds_write_b64 v42, v[16:17] offset:48
	s_waitcnt lgkmcnt(0)
	s_barrier
	buffer_gl0_inv
	global_load_dwordx4 v[16:19], v22, s[10:11] offset:48
	ds_read2_b64 v[20:23], v12 offset1:243
	ds_read_b64 v[24:25], v12 offset:3888
	v_mul_lo_u16 v27, v31, 19
	s_waitcnt vmcnt(0) lgkmcnt(0)
	s_barrier
	buffer_gl0_inv
	v_mul_lo_u16 v31, 0xcb, v31
	v_lshrrev_b16 v33, 9, v27
	v_mov_b32_e32 v27, 27
	v_mul_lo_u16 v28, v33, 27
	v_mul_u32_u24_sdwa v26, v26, v27 dst_sel:DWORD dst_unused:UNUSED_PAD src0_sel:WORD_0 src1_sel:DWORD
	v_sub_nc_u16 v27, v30, v28
	v_add_lshl_u32 v43, v26, v32, 3
	v_and_b32_e32 v36, 0xff, v27
	v_lshlrev_b32_e32 v26, 4, v36
	v_mul_f32_e32 v28, v23, v17
	v_mul_f32_e32 v29, v25, v19
	;; [unrolled: 1-line block ×4, first 2 shown]
	v_fma_f32 v22, v22, v16, -v28
	v_fma_f32 v24, v24, v18, -v29
	v_fmac_f32_e32 v34, v23, v16
	v_fmac_f32_e32 v35, v25, v18
	v_add_f32_e32 v25, v20, v22
	v_add_f32_e32 v23, v22, v24
	;; [unrolled: 1-line block ×4, first 2 shown]
	v_sub_f32_e32 v28, v34, v35
	v_sub_f32_e32 v32, v22, v24
	v_fma_f32 v20, -0.5, v23, v20
	v_add_f32_e32 v22, v25, v24
	v_fma_f32 v21, -0.5, v27, v21
	v_add_f32_e32 v23, v29, v35
	v_lshrrev_b16 v34, 14, v31
	v_fmamk_f32 v24, v28, 0x3f5db3d7, v20
	v_fmac_f32_e32 v20, 0xbf5db3d7, v28
	v_fmamk_f32 v25, v32, 0xbf5db3d7, v21
	v_fmac_f32_e32 v21, 0x3f5db3d7, v32
	ds_write2_b64 v43, v[22:23], v[24:25] offset1:9
	ds_write_b64 v43, v[20:21] offset:144
	s_waitcnt lgkmcnt(0)
	s_barrier
	buffer_gl0_inv
	global_load_dwordx4 v[20:23], v26, s[10:11] offset:192
	ds_read2_b64 v[24:27], v12 offset1:243
	ds_read_b64 v[28:29], v12 offset:3888
	v_mov_b32_e32 v31, 0x51
	v_mul_lo_u16 v32, 0x51, v34
	s_waitcnt vmcnt(0) lgkmcnt(0)
	s_barrier
	buffer_gl0_inv
	v_mul_u32_u24_sdwa v31, v33, v31 dst_sel:DWORD dst_unused:UNUSED_PAD src0_sel:WORD_0 src1_sel:DWORD
	v_sub_nc_u16 v30, v30, v32
	v_add_lshl_u32 v44, v31, v36, 3
	v_and_b32_e32 v38, 0xff, v30
	v_lshlrev_b32_e32 v30, 4, v38
	v_mul_f32_e32 v32, v27, v21
	v_mul_f32_e32 v33, v29, v23
	;; [unrolled: 1-line block ×4, first 2 shown]
	v_fma_f32 v26, v26, v20, -v32
	v_fma_f32 v28, v28, v22, -v33
	v_fmac_f32_e32 v35, v27, v20
	v_fmac_f32_e32 v37, v29, v22
	v_add_f32_e32 v29, v24, v26
	v_add_f32_e32 v27, v26, v28
	;; [unrolled: 1-line block ×4, first 2 shown]
	v_sub_f32_e32 v32, v35, v37
	v_sub_f32_e32 v35, v26, v28
	v_fma_f32 v24, -0.5, v27, v24
	v_add_f32_e32 v26, v29, v28
	v_fma_f32 v25, -0.5, v31, v25
	v_add_f32_e32 v27, v33, v37
	v_fmamk_f32 v28, v32, 0x3f5db3d7, v24
	v_fmac_f32_e32 v24, 0xbf5db3d7, v32
	v_fmamk_f32 v29, v35, 0xbf5db3d7, v25
	v_fmac_f32_e32 v25, 0x3f5db3d7, v35
	ds_write2_b64 v44, v[26:27], v[28:29] offset1:27
	ds_write_b64 v44, v[24:25] offset:432
	s_waitcnt lgkmcnt(0)
	s_barrier
	buffer_gl0_inv
	global_load_dwordx4 v[24:27], v30, s[10:11] offset:624
	ds_read2_b64 v[28:31], v12 offset1:243
	ds_read_b64 v[32:33], v12 offset:3888
	v_mov_b32_e32 v35, 0xf3
	s_waitcnt vmcnt(0) lgkmcnt(0)
	s_barrier
	buffer_gl0_inv
	v_mul_u32_u24_sdwa v34, v34, v35 dst_sel:DWORD dst_unused:UNUSED_PAD src0_sel:WORD_0 src1_sel:DWORD
	v_lshlrev_b32_e32 v35, 4, v11
	v_add_lshl_u32 v45, v34, v38, 3
	v_mul_f32_e32 v36, v31, v25
	v_mul_f32_e32 v37, v33, v27
	;; [unrolled: 1-line block ×4, first 2 shown]
	v_fma_f32 v30, v30, v24, -v36
	v_fma_f32 v32, v32, v26, -v37
	v_fmac_f32_e32 v39, v31, v24
	v_fmac_f32_e32 v40, v33, v26
	v_add_f32_e32 v33, v28, v30
	v_add_f32_e32 v31, v30, v32
	;; [unrolled: 1-line block ×4, first 2 shown]
	v_sub_f32_e32 v36, v39, v40
	v_sub_f32_e32 v38, v30, v32
	v_fma_f32 v28, -0.5, v31, v28
	v_add_f32_e32 v30, v33, v32
	v_fma_f32 v29, -0.5, v34, v29
	v_add_f32_e32 v31, v37, v40
	v_fmamk_f32 v32, v36, 0x3f5db3d7, v28
	v_fmac_f32_e32 v28, 0xbf5db3d7, v36
	v_fmamk_f32 v33, v38, 0xbf5db3d7, v29
	v_fmac_f32_e32 v29, 0x3f5db3d7, v38
	ds_write2_b64 v45, v[30:31], v[32:33] offset1:81
	ds_write_b64 v45, v[28:29] offset:1296
	s_waitcnt lgkmcnt(0)
	s_barrier
	buffer_gl0_inv
	global_load_dwordx4 v[28:31], v35, s[10:11] offset:1920
	ds_read2_b64 v[32:35], v12 offset1:243
	ds_read_b64 v[36:37], v12 offset:3888
	v_add_co_u32 v38, vcc_lo, 0x16c8, v13
	v_add_co_ci_u32_e32 v39, vcc_lo, 0, v14, vcc_lo
	s_waitcnt vmcnt(0) lgkmcnt(1)
	v_mul_f32_e32 v40, v35, v29
	v_mul_f32_e32 v41, v34, v29
	s_waitcnt lgkmcnt(0)
	v_mul_f32_e32 v46, v37, v31
	v_mul_f32_e32 v47, v36, v31
	v_fma_f32 v40, v34, v28, -v40
	v_fmac_f32_e32 v41, v35, v28
	v_fma_f32 v36, v36, v30, -v46
	v_fmac_f32_e32 v47, v37, v30
	v_add_co_u32 v34, vcc_lo, 0x1000, v13
	v_add_f32_e32 v46, v32, v40
	v_add_f32_e32 v37, v40, v36
	;; [unrolled: 1-line block ×3, first 2 shown]
	v_sub_f32_e32 v49, v41, v47
	v_add_f32_e32 v41, v33, v41
	v_sub_f32_e32 v50, v40, v36
	v_fma_f32 v32, -0.5, v37, v32
	v_fma_f32 v33, -0.5, v48, v33
	v_add_co_ci_u32_e32 v35, vcc_lo, 0, v14, vcc_lo
	v_add_co_u32 v13, vcc_lo, 0x2000, v13
	v_add_f32_e32 v36, v46, v36
	v_add_f32_e32 v37, v41, v47
	v_fmamk_f32 v40, v49, 0x3f5db3d7, v32
	v_fmamk_f32 v41, v50, 0xbf5db3d7, v33
	v_fmac_f32_e32 v32, 0xbf5db3d7, v49
	v_fmac_f32_e32 v33, 0x3f5db3d7, v50
	v_add_co_ci_u32_e32 v14, vcc_lo, 0, v14, vcc_lo
	ds_write2_b64 v12, v[36:37], v[40:41] offset1:243
	ds_write_b64 v12, v[32:33] offset:3888
	s_waitcnt lgkmcnt(0)
	s_barrier
	buffer_gl0_inv
	s_clause 0x2
	global_load_dwordx2 v[36:37], v[34:35], off offset:1736
	global_load_dwordx2 v[13:14], v[13:14], off offset:1528
	;; [unrolled: 1-line block ×3, first 2 shown]
	ds_read2_b64 v[32:35], v12 offset1:243
	s_waitcnt vmcnt(2) lgkmcnt(0)
	v_mul_f32_e32 v41, v33, v37
	v_mul_f32_e32 v40, v32, v37
	s_waitcnt vmcnt(0)
	v_mul_f32_e32 v46, v35, v39
	v_mul_f32_e32 v37, v34, v39
	v_fma_f32 v39, v32, v36, -v41
	v_fmac_f32_e32 v40, v33, v36
	v_fma_f32 v36, v34, v38, -v46
	v_fmac_f32_e32 v37, v35, v38
	ds_write2_b64 v12, v[39:40], v[36:37] offset1:243
	ds_read_b64 v[32:33], v12 offset:3888
	s_waitcnt lgkmcnt(0)
	v_mul_f32_e32 v34, v33, v14
	v_mul_f32_e32 v35, v32, v14
	v_fma_f32 v34, v32, v13, -v34
	v_fmac_f32_e32 v35, v33, v13
	ds_write_b64 v12, v[34:35] offset:3888
	s_waitcnt lgkmcnt(0)
	s_barrier
	buffer_gl0_inv
	ds_read2_b64 v[32:35], v12 offset1:243
	ds_read_b64 v[13:14], v12 offset:3888
	s_waitcnt lgkmcnt(0)
	s_barrier
	buffer_gl0_inv
	v_add_f32_e32 v37, v32, v34
	v_add_f32_e32 v36, v34, v13
	v_add_f32_e32 v38, v35, v14
	v_sub_f32_e32 v39, v35, v14
	v_add_f32_e32 v35, v33, v35
	v_fma_f32 v32, -0.5, v36, v32
	v_sub_f32_e32 v36, v34, v13
	v_fma_f32 v33, -0.5, v38, v33
	v_add_f32_e32 v13, v37, v13
	v_add_f32_e32 v14, v35, v14
	v_fmamk_f32 v34, v39, 0xbf5db3d7, v32
	v_fmac_f32_e32 v32, 0x3f5db3d7, v39
	v_fmamk_f32 v35, v36, 0x3f5db3d7, v33
	v_fmac_f32_e32 v33, 0xbf5db3d7, v36
	ds_write2_b64 v15, v[13:14], v[34:35] offset1:1
	ds_write_b64 v15, v[32:33] offset:16
	s_waitcnt lgkmcnt(0)
	s_barrier
	buffer_gl0_inv
	ds_read2_b64 v[32:35], v12 offset1:243
	ds_read_b64 v[13:14], v12 offset:3888
	s_waitcnt lgkmcnt(0)
	s_barrier
	buffer_gl0_inv
	v_mul_f32_e32 v15, v1, v35
	v_mul_f32_e32 v36, v3, v14
	v_mul_f32_e32 v1, v1, v34
	v_mul_f32_e32 v3, v3, v13
	v_fmac_f32_e32 v15, v0, v34
	v_fmac_f32_e32 v36, v2, v13
	v_fma_f32 v0, v0, v35, -v1
	v_fma_f32 v3, v2, v14, -v3
	v_add_f32_e32 v2, v32, v15
	v_add_f32_e32 v1, v15, v36
	v_add_f32_e32 v34, v33, v0
	v_add_f32_e32 v13, v0, v3
	v_sub_f32_e32 v14, v0, v3
	v_sub_f32_e32 v15, v15, v36
	v_fma_f32 v0, -0.5, v1, v32
	v_add_f32_e32 v2, v2, v36
	v_fma_f32 v1, -0.5, v13, v33
	v_add_f32_e32 v3, v34, v3
	v_fmamk_f32 v13, v14, 0xbf5db3d7, v0
	v_fmac_f32_e32 v0, 0x3f5db3d7, v14
	v_fmamk_f32 v14, v15, 0x3f5db3d7, v1
	v_fmac_f32_e32 v1, 0xbf5db3d7, v15
	ds_write2_b64 v42, v[2:3], v[13:14] offset1:3
	ds_write_b64 v42, v[0:1] offset:48
	s_waitcnt lgkmcnt(0)
	s_barrier
	buffer_gl0_inv
	ds_read2_b64 v[0:3], v12 offset1:243
	ds_read_b64 v[13:14], v12 offset:3888
	s_waitcnt lgkmcnt(0)
	s_barrier
	buffer_gl0_inv
	v_mul_f32_e32 v15, v17, v3
	v_mul_f32_e32 v32, v19, v14
	v_mul_f32_e32 v17, v17, v2
	v_mul_f32_e32 v19, v19, v13
	v_fmac_f32_e32 v15, v16, v2
	v_fmac_f32_e32 v32, v18, v13
	v_fma_f32 v2, v16, v3, -v17
	v_fma_f32 v3, v18, v14, -v19
	v_add_f32_e32 v14, v0, v15
	v_add_f32_e32 v13, v15, v32
	v_add_f32_e32 v18, v1, v2
	v_add_f32_e32 v16, v2, v3
	v_sub_f32_e32 v17, v2, v3
	v_sub_f32_e32 v15, v15, v32
	v_fma_f32 v0, -0.5, v13, v0
	v_add_f32_e32 v2, v14, v32
	v_fma_f32 v1, -0.5, v16, v1
	;; [unrolled: 32-line block ×4, first 2 shown]
	v_add_f32_e32 v3, v19, v3
	v_fmamk_f32 v13, v18, 0xbf5db3d7, v0
	v_fmac_f32_e32 v0, 0x3f5db3d7, v18
	v_fmamk_f32 v14, v15, 0x3f5db3d7, v1
	v_fmac_f32_e32 v1, 0xbf5db3d7, v15
	ds_write2_b64 v45, v[2:3], v[13:14] offset1:81
	ds_write_b64 v45, v[0:1] offset:1296
	s_waitcnt lgkmcnt(0)
	s_barrier
	buffer_gl0_inv
	ds_read2_b64 v[0:3], v12 offset1:243
	ds_read_b64 v[13:14], v12 offset:3888
	s_waitcnt lgkmcnt(1)
	v_mul_f32_e32 v15, v29, v3
	s_waitcnt lgkmcnt(0)
	v_mul_f32_e32 v16, v31, v14
	v_mul_f32_e32 v17, v29, v2
	;; [unrolled: 1-line block ×3, first 2 shown]
	v_fmac_f32_e32 v15, v28, v2
	v_fmac_f32_e32 v16, v30, v13
	v_fma_f32 v2, v28, v3, -v17
	v_fma_f32 v3, v30, v14, -v18
	v_add_f32_e32 v14, v0, v15
	v_add_f32_e32 v13, v15, v16
	v_add_f32_e32 v19, v1, v2
	v_add_f32_e32 v17, v2, v3
	v_sub_f32_e32 v18, v2, v3
	v_sub_f32_e32 v15, v15, v16
	v_fma_f32 v0, -0.5, v13, v0
	v_add_f32_e32 v2, v14, v16
	v_fma_f32 v1, -0.5, v17, v1
	v_add_f32_e32 v3, v19, v3
	v_mad_u64_u32 v[16:17], null, s0, v11, 0
	v_fmamk_f32 v13, v18, 0xbf5db3d7, v0
	v_fmamk_f32 v14, v15, 0x3f5db3d7, v1
	v_fmac_f32_e32 v0, 0x3f5db3d7, v18
	v_fmac_f32_e32 v1, 0xbf5db3d7, v15
	ds_write2_b64 v12, v[2:3], v[13:14] offset1:243
	ds_write_b64 v12, v[0:1] offset:3888
	s_waitcnt lgkmcnt(0)
	s_barrier
	buffer_gl0_inv
	ds_read2_b64 v[0:3], v12 offset1:243
	ds_read_b64 v[12:13], v12 offset:3888
	v_mad_u64_u32 v[14:15], null, s2, v4, 0
	s_waitcnt lgkmcnt(1)
	v_mul_f32_e32 v18, v6, v1
	v_mul_f32_e32 v6, v6, v0
	v_mul_f32_e32 v19, v8, v3
	v_mul_f32_e32 v8, v8, v2
	s_waitcnt lgkmcnt(0)
	v_mul_f32_e32 v20, v10, v13
	v_mul_f32_e32 v10, v10, v12
	v_fmac_f32_e32 v18, v5, v0
	v_fma_f32 v5, v5, v1, -v6
	v_fmac_f32_e32 v19, v7, v2
	v_fma_f32 v7, v7, v3, -v8
	;; [unrolled: 2-line block ×3, first 2 shown]
	v_cvt_f64_f32_e32 v[0:1], v18
	v_cvt_f64_f32_e32 v[2:3], v5
	;; [unrolled: 1-line block ×6, first 2 shown]
	v_mad_u64_u32 v[18:19], null, s3, v4, v[15:16]
	s_load_dwordx2 s[2:3], s[4:5], 0x38
	s_mov_b32 s4, 0xe0bf08c7
	s_mov_b32 s5, 0x3f567980
	v_mad_u64_u32 v[19:20], null, s1, v11, v[17:18]
	v_mov_b32_e32 v15, v18
	s_mulk_i32 s1, 0x798
	v_lshlrev_b64 v[14:15], 3, v[14:15]
	v_mul_f64 v[0:1], v[0:1], s[4:5]
	v_mul_f64 v[2:3], v[2:3], s[4:5]
	v_mul_f64 v[4:5], v[5:6], s[4:5]
	v_mul_f64 v[6:7], v[7:8], s[4:5]
	v_mov_b32_e32 v17, v19
	v_mul_f64 v[8:9], v[9:10], s[4:5]
	v_mul_f64 v[10:11], v[12:13], s[4:5]
	s_waitcnt lgkmcnt(0)
	v_add_co_u32 v14, vcc_lo, s2, v14
	v_lshlrev_b64 v[12:13], 3, v[16:17]
	v_add_co_ci_u32_e32 v15, vcc_lo, s3, v15, vcc_lo
	v_add_co_u32 v12, vcc_lo, v14, v12
	v_add_co_ci_u32_e32 v13, vcc_lo, v15, v13, vcc_lo
	v_mad_u64_u32 v[14:15], null, 0x798, s0, v[12:13]
	v_cvt_f32_f64_e32 v0, v[0:1]
	v_cvt_f32_f64_e32 v1, v[2:3]
	;; [unrolled: 1-line block ×6, first 2 shown]
	v_add_nc_u32_e32 v15, s1, v15
	v_mad_u64_u32 v[6:7], null, 0x798, s0, v[14:15]
	v_add_nc_u32_e32 v7, s1, v7
	global_store_dwordx2 v[12:13], v[0:1], off
	global_store_dwordx2 v[14:15], v[2:3], off
	;; [unrolled: 1-line block ×3, first 2 shown]
.LBB0_2:
	s_endpgm
	.section	.rodata,"a",@progbits
	.p2align	6, 0x0
	.amdhsa_kernel bluestein_single_back_len729_dim1_sp_op_CI_CI
		.amdhsa_group_segment_fixed_size 5832
		.amdhsa_private_segment_fixed_size 0
		.amdhsa_kernarg_size 104
		.amdhsa_user_sgpr_count 6
		.amdhsa_user_sgpr_private_segment_buffer 1
		.amdhsa_user_sgpr_dispatch_ptr 0
		.amdhsa_user_sgpr_queue_ptr 0
		.amdhsa_user_sgpr_kernarg_segment_ptr 1
		.amdhsa_user_sgpr_dispatch_id 0
		.amdhsa_user_sgpr_flat_scratch_init 0
		.amdhsa_user_sgpr_private_segment_size 0
		.amdhsa_wavefront_size32 1
		.amdhsa_uses_dynamic_stack 0
		.amdhsa_system_sgpr_private_segment_wavefront_offset 0
		.amdhsa_system_sgpr_workgroup_id_x 1
		.amdhsa_system_sgpr_workgroup_id_y 0
		.amdhsa_system_sgpr_workgroup_id_z 0
		.amdhsa_system_sgpr_workgroup_info 0
		.amdhsa_system_vgpr_workitem_id 0
		.amdhsa_next_free_vgpr 51
		.amdhsa_next_free_sgpr 16
		.amdhsa_reserve_vcc 1
		.amdhsa_reserve_flat_scratch 0
		.amdhsa_float_round_mode_32 0
		.amdhsa_float_round_mode_16_64 0
		.amdhsa_float_denorm_mode_32 3
		.amdhsa_float_denorm_mode_16_64 3
		.amdhsa_dx10_clamp 1
		.amdhsa_ieee_mode 1
		.amdhsa_fp16_overflow 0
		.amdhsa_workgroup_processor_mode 1
		.amdhsa_memory_ordered 1
		.amdhsa_forward_progress 0
		.amdhsa_shared_vgpr_count 0
		.amdhsa_exception_fp_ieee_invalid_op 0
		.amdhsa_exception_fp_denorm_src 0
		.amdhsa_exception_fp_ieee_div_zero 0
		.amdhsa_exception_fp_ieee_overflow 0
		.amdhsa_exception_fp_ieee_underflow 0
		.amdhsa_exception_fp_ieee_inexact 0
		.amdhsa_exception_int_div_zero 0
	.end_amdhsa_kernel
	.text
.Lfunc_end0:
	.size	bluestein_single_back_len729_dim1_sp_op_CI_CI, .Lfunc_end0-bluestein_single_back_len729_dim1_sp_op_CI_CI
                                        ; -- End function
	.section	.AMDGPU.csdata,"",@progbits
; Kernel info:
; codeLenInByte = 3440
; NumSgprs: 18
; NumVgprs: 51
; ScratchSize: 0
; MemoryBound: 0
; FloatMode: 240
; IeeeMode: 1
; LDSByteSize: 5832 bytes/workgroup (compile time only)
; SGPRBlocks: 2
; VGPRBlocks: 6
; NumSGPRsForWavesPerEU: 18
; NumVGPRsForWavesPerEU: 51
; Occupancy: 16
; WaveLimiterHint : 1
; COMPUTE_PGM_RSRC2:SCRATCH_EN: 0
; COMPUTE_PGM_RSRC2:USER_SGPR: 6
; COMPUTE_PGM_RSRC2:TRAP_HANDLER: 0
; COMPUTE_PGM_RSRC2:TGID_X_EN: 1
; COMPUTE_PGM_RSRC2:TGID_Y_EN: 0
; COMPUTE_PGM_RSRC2:TGID_Z_EN: 0
; COMPUTE_PGM_RSRC2:TIDIG_COMP_CNT: 0
	.text
	.p2alignl 6, 3214868480
	.fill 48, 4, 3214868480
	.type	__hip_cuid_64789cf9a3531b9e,@object ; @__hip_cuid_64789cf9a3531b9e
	.section	.bss,"aw",@nobits
	.globl	__hip_cuid_64789cf9a3531b9e
__hip_cuid_64789cf9a3531b9e:
	.byte	0                               ; 0x0
	.size	__hip_cuid_64789cf9a3531b9e, 1

	.ident	"AMD clang version 19.0.0git (https://github.com/RadeonOpenCompute/llvm-project roc-6.4.0 25133 c7fe45cf4b819c5991fe208aaa96edf142730f1d)"
	.section	".note.GNU-stack","",@progbits
	.addrsig
	.addrsig_sym __hip_cuid_64789cf9a3531b9e
	.amdgpu_metadata
---
amdhsa.kernels:
  - .args:
      - .actual_access:  read_only
        .address_space:  global
        .offset:         0
        .size:           8
        .value_kind:     global_buffer
      - .actual_access:  read_only
        .address_space:  global
        .offset:         8
        .size:           8
        .value_kind:     global_buffer
      - .actual_access:  read_only
        .address_space:  global
        .offset:         16
        .size:           8
        .value_kind:     global_buffer
      - .actual_access:  read_only
        .address_space:  global
        .offset:         24
        .size:           8
        .value_kind:     global_buffer
      - .actual_access:  read_only
        .address_space:  global
        .offset:         32
        .size:           8
        .value_kind:     global_buffer
      - .offset:         40
        .size:           8
        .value_kind:     by_value
      - .address_space:  global
        .offset:         48
        .size:           8
        .value_kind:     global_buffer
      - .address_space:  global
        .offset:         56
        .size:           8
        .value_kind:     global_buffer
      - .address_space:  global
        .offset:         64
        .size:           8
        .value_kind:     global_buffer
      - .address_space:  global
        .offset:         72
        .size:           8
        .value_kind:     global_buffer
      - .offset:         80
        .size:           4
        .value_kind:     by_value
      - .address_space:  global
        .offset:         88
        .size:           8
        .value_kind:     global_buffer
      - .address_space:  global
        .offset:         96
        .size:           8
        .value_kind:     global_buffer
    .group_segment_fixed_size: 5832
    .kernarg_segment_align: 8
    .kernarg_segment_size: 104
    .language:       OpenCL C
    .language_version:
      - 2
      - 0
    .max_flat_workgroup_size: 243
    .name:           bluestein_single_back_len729_dim1_sp_op_CI_CI
    .private_segment_fixed_size: 0
    .sgpr_count:     18
    .sgpr_spill_count: 0
    .symbol:         bluestein_single_back_len729_dim1_sp_op_CI_CI.kd
    .uniform_work_group_size: 1
    .uses_dynamic_stack: false
    .vgpr_count:     51
    .vgpr_spill_count: 0
    .wavefront_size: 32
    .workgroup_processor_mode: 1
amdhsa.target:   amdgcn-amd-amdhsa--gfx1030
amdhsa.version:
  - 1
  - 2
...

	.end_amdgpu_metadata
